;; amdgpu-corpus repo=ROCm/rocFFT kind=compiled arch=gfx950 opt=O3
	.text
	.amdgcn_target "amdgcn-amd-amdhsa--gfx950"
	.amdhsa_code_object_version 6
	.protected	fft_rtc_back_len200_factors_2_10_10_wgs_240_tpt_20_dim3_sp_ip_CI_sbcc_twdbase8_2step_dirReg ; -- Begin function fft_rtc_back_len200_factors_2_10_10_wgs_240_tpt_20_dim3_sp_ip_CI_sbcc_twdbase8_2step_dirReg
	.globl	fft_rtc_back_len200_factors_2_10_10_wgs_240_tpt_20_dim3_sp_ip_CI_sbcc_twdbase8_2step_dirReg
	.p2align	8
	.type	fft_rtc_back_len200_factors_2_10_10_wgs_240_tpt_20_dim3_sp_ip_CI_sbcc_twdbase8_2step_dirReg,@function
fft_rtc_back_len200_factors_2_10_10_wgs_240_tpt_20_dim3_sp_ip_CI_sbcc_twdbase8_2step_dirReg: ; @fft_rtc_back_len200_factors_2_10_10_wgs_240_tpt_20_dim3_sp_ip_CI_sbcc_twdbase8_2step_dirReg
; %bb.0:
	s_load_dwordx4 s[4:7], s[0:1], 0x10
	s_mov_b32 s3, 0
	s_waitcnt lgkmcnt(0)
	s_load_dwordx2 s[20:21], s[4:5], 0x8
	s_waitcnt lgkmcnt(0)
	s_add_u32 s8, s20, -1
	s_addc_u32 s9, s21, -1
	s_add_u32 s10, 0, 0x55540000
	s_addc_u32 s11, 0, 0x55
	s_mul_hi_u32 s13, s10, -12
	s_add_i32 s11, s11, 0x15555500
	s_sub_i32 s13, s13, s10
	s_mul_i32 s16, s11, -12
	s_mul_i32 s12, s10, -12
	s_add_i32 s13, s13, s16
	s_mul_hi_u32 s14, s11, s12
	s_mul_i32 s15, s11, s12
	s_mul_i32 s17, s10, s13
	s_mul_hi_u32 s12, s10, s12
	s_mul_hi_u32 s16, s10, s13
	s_add_u32 s12, s12, s17
	s_addc_u32 s16, 0, s16
	s_add_u32 s12, s12, s15
	s_mul_hi_u32 s17, s11, s13
	s_addc_u32 s12, s16, s14
	s_addc_u32 s14, s17, 0
	s_mul_i32 s13, s11, s13
	s_add_u32 s12, s12, s13
	v_mov_b32_e32 v1, s12
	s_addc_u32 s13, 0, s14
	v_add_co_u32_e32 v1, vcc, s10, v1
	s_cmp_lg_u64 vcc, 0
	s_addc_u32 s10, s11, s13
	v_readfirstlane_b32 s13, v1
	s_mul_i32 s12, s8, s10
	s_mul_hi_u32 s14, s8, s13
	s_mul_hi_u32 s11, s8, s10
	s_add_u32 s12, s14, s12
	s_addc_u32 s11, 0, s11
	s_mul_hi_u32 s15, s9, s13
	s_mul_i32 s13, s9, s13
	s_add_u32 s12, s12, s13
	s_mul_hi_u32 s14, s9, s10
	s_addc_u32 s11, s11, s15
	s_addc_u32 s12, s14, 0
	s_mul_i32 s10, s9, s10
	s_add_u32 s10, s11, s10
	s_addc_u32 s11, 0, s12
	s_add_u32 s12, s10, 1
	s_addc_u32 s13, s11, 0
	s_add_u32 s14, s10, 2
	s_mul_i32 s16, s11, 12
	s_mul_hi_u32 s17, s10, 12
	s_addc_u32 s15, s11, 0
	s_add_i32 s17, s17, s16
	s_mul_i32 s16, s10, 12
	v_mov_b32_e32 v1, s16
	v_sub_co_u32_e32 v1, vcc, s8, v1
	s_cmp_lg_u64 vcc, 0
	s_subb_u32 s8, s9, s17
	v_subrev_co_u32_e32 v2, vcc, 12, v1
	s_cmp_lg_u64 vcc, 0
	s_subb_u32 s9, s8, 0
	v_readfirstlane_b32 s16, v2
	s_cmp_gt_u32 s16, 11
	s_cselect_b32 s16, -1, 0
	s_cmp_eq_u32 s9, 0
	s_cselect_b32 s9, s16, -1
	s_cmp_lg_u32 s9, 0
	s_cselect_b32 s9, s14, s12
	s_cselect_b32 s12, s15, s13
	v_readfirstlane_b32 s13, v1
	s_cmp_gt_u32 s13, 11
	s_cselect_b32 s13, -1, 0
	s_cmp_eq_u32 s8, 0
	s_cselect_b32 s8, s13, -1
	s_cmp_lg_u32 s8, 0
	s_cselect_b32 s9, s9, s10
	s_cselect_b32 s8, s12, s11
	s_add_u32 s14, s9, 1
	s_addc_u32 s15, s8, 0
	v_mov_b64_e32 v[2:3], s[14:15]
	v_cmp_lt_u64_e32 vcc, s[2:3], v[2:3]
	s_mov_b64 s[16:17], 0
	s_cbranch_vccnz .LBB0_2
; %bb.1:
	v_cvt_f32_u32_e32 v1, s14
	s_sub_i32 s8, 0, s14
	s_mov_b32 s17, s3
	v_rcp_iflag_f32_e32 v1, v1
	s_nop 0
	v_mul_f32_e32 v1, 0x4f7ffffe, v1
	v_cvt_u32_f32_e32 v1, v1
	s_nop 0
	v_readfirstlane_b32 s9, v1
	s_mul_i32 s8, s8, s9
	s_mul_hi_u32 s8, s9, s8
	s_add_i32 s9, s9, s8
	s_mul_hi_u32 s8, s2, s9
	s_mul_i32 s10, s8, s14
	s_sub_i32 s10, s2, s10
	s_add_i32 s9, s8, 1
	s_sub_i32 s11, s10, s14
	s_cmp_ge_u32 s10, s14
	s_cselect_b32 s8, s9, s8
	s_cselect_b32 s10, s11, s10
	s_add_i32 s9, s8, 1
	s_cmp_ge_u32 s10, s14
	s_cselect_b32 s16, s9, s8
.LBB0_2:
	s_load_dwordx2 s[8:9], s[4:5], 0x10
	s_load_dwordx2 s[10:11], s[6:7], 0x8
	s_mov_b64 s[18:19], s[16:17]
	s_waitcnt lgkmcnt(0)
	v_mov_b64_e32 v[2:3], s[8:9]
	v_cmp_lt_u64_e32 vcc, s[16:17], v[2:3]
	s_cbranch_vccnz .LBB0_4
; %bb.3:
	v_cvt_f32_u32_e32 v1, s8
	s_sub_i32 s4, 0, s8
	v_rcp_iflag_f32_e32 v1, v1
	s_nop 0
	v_mul_f32_e32 v1, 0x4f7ffffe, v1
	v_cvt_u32_f32_e32 v1, v1
	s_nop 0
	v_readfirstlane_b32 s5, v1
	s_mul_i32 s4, s4, s5
	s_mul_hi_u32 s4, s5, s4
	s_add_i32 s5, s5, s4
	s_mul_hi_u32 s4, s16, s5
	s_mul_i32 s4, s4, s8
	s_sub_i32 s4, s16, s4
	s_sub_i32 s5, s4, s8
	s_cmp_ge_u32 s4, s8
	s_cselect_b32 s4, s5, s4
	s_sub_i32 s5, s4, s8
	s_cmp_ge_u32 s4, s8
	s_cselect_b32 s18, s5, s4
.LBB0_4:
	s_mul_i32 s12, s8, s15
	s_mul_hi_u32 s13, s8, s14
	s_add_i32 s12, s13, s12
	s_mul_i32 s9, s9, s14
	s_load_dwordx2 s[4:5], s[0:1], 0x50
	s_add_i32 s13, s12, s9
	s_mul_i32 s12, s8, s14
	s_load_dwordx2 s[8:9], s[6:7], 0x0
	s_load_dwordx2 s[22:23], s[6:7], 0x10
	v_mov_b64_e32 v[2:3], s[12:13]
	v_cmp_lt_u64_e32 vcc, s[2:3], v[2:3]
	s_mov_b64 s[24:25], 0
	s_cbranch_vccnz .LBB0_6
; %bb.5:
	v_cvt_f32_u32_e32 v1, s12
	s_sub_i32 s3, 0, s12
	v_rcp_iflag_f32_e32 v1, v1
	s_nop 0
	v_mul_f32_e32 v1, 0x4f7ffffe, v1
	v_cvt_u32_f32_e32 v1, v1
	s_nop 0
	v_readfirstlane_b32 s13, v1
	s_mul_i32 s3, s3, s13
	s_mul_hi_u32 s3, s13, s3
	s_add_i32 s13, s13, s3
	s_mul_hi_u32 s3, s2, s13
	s_mul_i32 s17, s3, s12
	s_sub_i32 s17, s2, s17
	s_add_i32 s13, s3, 1
	s_sub_i32 s19, s17, s12
	s_cmp_ge_u32 s17, s12
	s_cselect_b32 s3, s13, s3
	s_cselect_b32 s17, s19, s17
	s_add_i32 s13, s3, 1
	s_cmp_ge_u32 s17, s12
	s_cselect_b32 s24, s13, s3
.LBB0_6:
	s_mul_i32 s3, s16, s15
	s_mul_hi_u32 s15, s16, s14
	s_add_i32 s15, s15, s3
	s_mul_i32 s3, s16, s14
	s_sub_u32 s14, s2, s3
	s_subb_u32 s2, 0, s15
	s_mul_i32 s15, s2, 12
	s_mul_hi_u32 s2, s14, 12
	s_add_i32 s16, s2, s15
	s_mul_i32 s17, s14, 12
	s_mul_i32 s2, s10, s16
	s_mul_hi_u32 s3, s10, s17
	s_add_i32 s2, s3, s2
	s_mul_i32 s3, s11, s17
	s_add_i32 s19, s2, s3
	s_load_dwordx2 s[2:3], s[6:7], 0x18
	s_waitcnt lgkmcnt(0)
	s_mul_i32 s23, s23, s18
	s_mul_hi_u32 s26, s22, s18
	s_mul_i32 s25, s10, s17
	s_add_i32 s26, s26, s23
	s_mul_i32 s6, s22, s18
	s_add_u32 s6, s6, s25
	s_mul_i32 s3, s3, s24
	s_mul_hi_u32 s18, s2, s24
	v_mul_u32_u24_e32 v1, 0x1556, v0
	s_addc_u32 s7, s26, s19
	s_add_i32 s18, s18, s3
	s_mul_i32 s2, s2, s24
	v_lshrrev_b32_e32 v26, 16, v1
	s_add_u32 s6, s2, s6
	v_mul_lo_u16_e32 v1, 12, v26
	s_load_dwordx2 s[12:13], s[0:1], 0x0
	s_addc_u32 s7, s18, s7
	v_sub_u16_e32 v14, v0, v1
	v_mov_b32_e32 v15, 0
	v_mad_u64_u32 v[16:17], s[2:3], s14, 12, v[14:15]
	s_add_u32 s14, s17, 12
	v_add_u32_e32 v17, s15, v17
	s_addc_u32 s15, s16, 0
	v_mov_b64_e32 v[2:3], s[20:21]
	v_cmp_gt_u64_e32 vcc, s[14:15], v[2:3]
	v_cmp_le_u64_e64 s[2:3], s[14:15], v[2:3]
	s_cbranch_vccz .LBB0_12
; %bb.7:
	v_cmp_le_u64_e32 vcc, s[20:21], v[16:17]
                                        ; implicit-def: $vgpr15
                                        ; implicit-def: $vgpr27
                                        ; implicit-def: $vgpr28
                                        ; implicit-def: $vgpr29
	s_and_saveexec_b64 s[14:15], vcc
	s_xor_b64 s[14:15], exec, s[14:15]
; %bb.8:
	v_add_u32_e32 v15, 20, v26
	v_add_u32_e32 v27, 40, v26
	;; [unrolled: 1-line block ×4, first 2 shown]
; %bb.9:
	s_or_saveexec_b64 s[14:15], s[14:15]
                                        ; implicit-def: $vgpr7
                                        ; implicit-def: $vgpr3
                                        ; implicit-def: $vgpr9
                                        ; implicit-def: $vgpr5
                                        ; implicit-def: $vgpr19
                                        ; implicit-def: $vgpr11
                                        ; implicit-def: $vgpr21
                                        ; implicit-def: $vgpr13
                                        ; implicit-def: $vgpr25
                                        ; implicit-def: $vgpr23
	s_xor_b64 exec, exec, s[14:15]
	s_cbranch_execz .LBB0_11
; %bb.10:
	v_mad_u64_u32 v[2:3], s[16:17], s10, v14, 0
	v_mov_b32_e32 v4, v3
	v_mad_u64_u32 v[4:5], s[16:17], s11, v14, v[4:5]
	v_mov_b32_e32 v3, v4
	v_mad_u64_u32 v[4:5], s[16:17], s8, v26, 0
	v_mov_b32_e32 v6, v5
	v_mad_u64_u32 v[6:7], s[16:17], s9, v26, v[6:7]
	s_lshl_b64 s[16:17], s[6:7], 3
	s_add_u32 s16, s4, s16
	s_addc_u32 s17, s5, s17
	v_add_u32_e32 v1, 0x64, v26
	v_mov_b32_e32 v5, v6
	v_lshl_add_u64 v[22:23], v[2:3], 3, s[16:17]
	v_mad_u64_u32 v[2:3], s[16:17], s8, v1, 0
	v_lshl_add_u64 v[10:11], v[4:5], 3, v[22:23]
	v_mov_b32_e32 v4, v3
	v_mad_u64_u32 v[4:5], s[16:17], s9, v1, v[4:5]
	v_mov_b32_e32 v3, v4
	v_add_u32_e32 v15, 20, v26
	v_lshl_add_u64 v[12:13], v[2:3], 3, v[22:23]
	v_mad_u64_u32 v[2:3], s[16:17], s8, v15, 0
	v_mov_b32_e32 v4, v3
	v_mad_u64_u32 v[4:5], s[16:17], s9, v15, v[4:5]
	v_mov_b32_e32 v3, v4
	v_add_u32_e32 v1, 0x78, v26
	v_lshl_add_u64 v[18:19], v[2:3], 3, v[22:23]
	v_mad_u64_u32 v[2:3], s[16:17], s8, v1, 0
	v_mov_b32_e32 v4, v3
	v_mad_u64_u32 v[4:5], s[16:17], s9, v1, v[4:5]
	v_mov_b32_e32 v3, v4
	v_add_u32_e32 v27, 40, v26
	v_lshl_add_u64 v[20:21], v[2:3], 3, v[22:23]
	global_load_dwordx2 v[2:3], v[10:11], off
	global_load_dwordx2 v[6:7], v[12:13], off
	;; [unrolled: 1-line block ×4, first 2 shown]
	v_mad_u64_u32 v[10:11], s[16:17], s8, v27, 0
	v_mov_b32_e32 v12, v11
	v_mad_u64_u32 v[12:13], s[16:17], s9, v27, v[12:13]
	v_mov_b32_e32 v11, v12
	v_add_u32_e32 v1, 0x8c, v26
	v_lshl_add_u64 v[24:25], v[10:11], 3, v[22:23]
	v_mad_u64_u32 v[10:11], s[16:17], s8, v1, 0
	v_mov_b32_e32 v12, v11
	v_mad_u64_u32 v[12:13], s[16:17], s9, v1, v[12:13]
	v_mov_b32_e32 v11, v12
	v_add_u32_e32 v28, 60, v26
	v_lshl_add_u64 v[30:31], v[10:11], 3, v[22:23]
	v_mad_u64_u32 v[10:11], s[16:17], s8, v28, 0
	v_mov_b32_e32 v12, v11
	v_mad_u64_u32 v[12:13], s[16:17], s9, v28, v[12:13]
	v_mov_b32_e32 v11, v12
	v_or_b32_e32 v1, 0xa0, v26
	v_lshl_add_u64 v[32:33], v[10:11], 3, v[22:23]
	v_mad_u64_u32 v[10:11], s[16:17], s8, v1, 0
	v_mov_b32_e32 v12, v11
	v_mad_u64_u32 v[12:13], s[16:17], s9, v1, v[12:13]
	v_mov_b32_e32 v11, v12
	v_add_u32_e32 v29, 0x50, v26
	v_lshl_add_u64 v[34:35], v[10:11], 3, v[22:23]
	global_load_dwordx2 v[10:11], v[24:25], off
	global_load_dwordx2 v[18:19], v[30:31], off
	;; [unrolled: 1-line block ×4, first 2 shown]
	v_mad_u64_u32 v[24:25], s[16:17], s8, v29, 0
	v_mov_b32_e32 v30, v25
	v_mad_u64_u32 v[30:31], s[16:17], s9, v29, v[30:31]
	v_mov_b32_e32 v25, v30
	v_add_u32_e32 v1, 0xb4, v26
	v_lshl_add_u64 v[30:31], v[24:25], 3, v[22:23]
	v_mad_u64_u32 v[24:25], s[16:17], s8, v1, 0
	v_mov_b32_e32 v32, v25
	v_mad_u64_u32 v[32:33], s[16:17], s9, v1, v[32:33]
	v_mov_b32_e32 v25, v32
	v_lshl_add_u64 v[32:33], v[24:25], 3, v[22:23]
	global_load_dwordx2 v[22:23], v[30:31], off
	global_load_dwordx2 v[24:25], v[32:33], off
.LBB0_11:
	s_or_b64 exec, exec, s[14:15]
	s_cbranch_execz .LBB0_13
	s_branch .LBB0_14
.LBB0_12:
                                        ; implicit-def: $vgpr7
                                        ; implicit-def: $vgpr3
                                        ; implicit-def: $vgpr9
                                        ; implicit-def: $vgpr5
                                        ; implicit-def: $vgpr19
                                        ; implicit-def: $vgpr11
                                        ; implicit-def: $vgpr21
                                        ; implicit-def: $vgpr13
                                        ; implicit-def: $vgpr25
                                        ; implicit-def: $vgpr23
                                        ; implicit-def: $vgpr15
                                        ; implicit-def: $vgpr27
                                        ; implicit-def: $vgpr28
                                        ; implicit-def: $vgpr29
.LBB0_13:
	s_waitcnt vmcnt(9)
	v_mad_u64_u32 v[2:3], s[14:15], s10, v14, 0
	s_waitcnt vmcnt(7)
	v_mov_b32_e32 v4, v3
	v_mad_u64_u32 v[4:5], s[14:15], s11, v14, v[4:5]
	v_mov_b32_e32 v3, v4
	v_mad_u64_u32 v[4:5], s[14:15], s8, v26, 0
	;; [unrolled: 2-line block ×3, first 2 shown]
	s_lshl_b64 s[14:15], s[6:7], 3
	s_add_u32 s14, s4, s14
	s_addc_u32 s15, s5, s15
	v_add_u32_e32 v1, 0x64, v26
	v_mov_b32_e32 v5, v6
	s_waitcnt vmcnt(1)
	v_lshl_add_u64 v[22:23], v[2:3], 3, s[14:15]
	v_mad_u64_u32 v[2:3], s[14:15], s8, v1, 0
	v_lshl_add_u64 v[10:11], v[4:5], 3, v[22:23]
	v_mov_b32_e32 v4, v3
	v_mad_u64_u32 v[4:5], s[14:15], s9, v1, v[4:5]
	v_mov_b32_e32 v3, v4
	v_add_u32_e32 v15, 20, v26
	v_lshl_add_u64 v[12:13], v[2:3], 3, v[22:23]
	v_mad_u64_u32 v[2:3], s[14:15], s8, v15, 0
	v_mov_b32_e32 v4, v3
	v_mad_u64_u32 v[4:5], s[14:15], s9, v15, v[4:5]
	v_mov_b32_e32 v3, v4
	v_add_u32_e32 v1, 0x78, v26
	v_lshl_add_u64 v[18:19], v[2:3], 3, v[22:23]
	v_mad_u64_u32 v[2:3], s[14:15], s8, v1, 0
	v_mov_b32_e32 v4, v3
	v_mad_u64_u32 v[4:5], s[14:15], s9, v1, v[4:5]
	v_mov_b32_e32 v3, v4
	v_add_u32_e32 v27, 40, v26
	v_lshl_add_u64 v[20:21], v[2:3], 3, v[22:23]
	global_load_dwordx2 v[2:3], v[10:11], off
	global_load_dwordx2 v[6:7], v[12:13], off
	;; [unrolled: 1-line block ×4, first 2 shown]
	v_mad_u64_u32 v[10:11], s[14:15], s8, v27, 0
	v_mov_b32_e32 v12, v11
	v_mad_u64_u32 v[12:13], s[14:15], s9, v27, v[12:13]
	v_mov_b32_e32 v11, v12
	v_add_u32_e32 v1, 0x8c, v26
	s_waitcnt vmcnt(4)
	v_lshl_add_u64 v[24:25], v[10:11], 3, v[22:23]
	v_mad_u64_u32 v[10:11], s[14:15], s8, v1, 0
	v_mov_b32_e32 v12, v11
	v_mad_u64_u32 v[12:13], s[14:15], s9, v1, v[12:13]
	v_mov_b32_e32 v11, v12
	v_add_u32_e32 v28, 60, v26
	v_lshl_add_u64 v[30:31], v[10:11], 3, v[22:23]
	v_mad_u64_u32 v[10:11], s[14:15], s8, v28, 0
	v_mov_b32_e32 v12, v11
	v_mad_u64_u32 v[12:13], s[14:15], s9, v28, v[12:13]
	v_mov_b32_e32 v11, v12
	v_or_b32_e32 v1, 0xa0, v26
	v_lshl_add_u64 v[32:33], v[10:11], 3, v[22:23]
	v_mad_u64_u32 v[10:11], s[14:15], s8, v1, 0
	v_mov_b32_e32 v12, v11
	v_mad_u64_u32 v[12:13], s[14:15], s9, v1, v[12:13]
	v_mov_b32_e32 v11, v12
	v_add_u32_e32 v29, 0x50, v26
	v_lshl_add_u64 v[34:35], v[10:11], 3, v[22:23]
	global_load_dwordx2 v[10:11], v[24:25], off
	global_load_dwordx2 v[18:19], v[30:31], off
	;; [unrolled: 1-line block ×4, first 2 shown]
	v_mad_u64_u32 v[24:25], s[14:15], s8, v29, 0
	v_mov_b32_e32 v30, v25
	v_mad_u64_u32 v[30:31], s[14:15], s9, v29, v[30:31]
	v_mov_b32_e32 v25, v30
	v_add_u32_e32 v1, 0xb4, v26
	v_lshl_add_u64 v[30:31], v[24:25], 3, v[22:23]
	v_mad_u64_u32 v[24:25], s[14:15], s8, v1, 0
	v_mov_b32_e32 v32, v25
	v_mad_u64_u32 v[32:33], s[14:15], s9, v1, v[32:33]
	v_mov_b32_e32 v25, v32
	v_lshl_add_u64 v[32:33], v[24:25], 3, v[22:23]
	global_load_dwordx2 v[22:23], v[30:31], off
	global_load_dwordx2 v[24:25], v[32:33], off
.LBB0_14:
	s_waitcnt vmcnt(8)
	v_pk_add_f32 v[6:7], v[2:3], v[6:7] neg_lo:[0,1] neg_hi:[0,1]
	v_mul_u32_u24_e32 v1, 0xc0, v26
	v_lshlrev_b32_e32 v38, 3, v14
	v_add3_u32 v1, 0, v1, v38
	v_pk_fma_f32 v[2:3], v[2:3], 2.0, v[6:7] op_sel_hi:[1,0,1] neg_lo:[0,0,1] neg_hi:[0,0,1]
	s_waitcnt vmcnt(6)
	v_pk_add_f32 v[8:9], v[4:5], v[8:9] neg_lo:[0,1] neg_hi:[0,1]
	ds_write2_b64 v1, v[2:3], v[6:7] offset1:12
	v_mul_i32_i24_e32 v2, 0xc0, v15
	v_add3_u32 v34, 0, v2, v38
	v_pk_fma_f32 v[2:3], v[4:5], 2.0, v[8:9] op_sel_hi:[1,0,1] neg_lo:[0,0,1] neg_hi:[0,0,1]
	s_waitcnt vmcnt(4)
	v_pk_add_f32 v[18:19], v[10:11], v[18:19] neg_lo:[0,1] neg_hi:[0,1]
	ds_write2_b64 v34, v[2:3], v[8:9] offset1:12
	v_mul_i32_i24_e32 v2, 0xc0, v27
	;; [unrolled: 6-line block ×4, first 2 shown]
	v_add3_u32 v19, 0, v2, v38
	v_pk_fma_f32 v[2:3], v[22:23], 2.0, v[24:25] op_sel_hi:[1,0,1] neg_lo:[0,0,1] neg_hi:[0,0,1]
	v_and_b32_e32 v20, 1, v26
	ds_write2_b64 v19, v[2:3], v[24:25] offset1:12
	v_mul_u32_u24_e32 v2, 9, v20
	v_lshlrev_b32_e32 v21, 3, v2
	s_waitcnt lgkmcnt(0)
	s_barrier
	global_load_dwordx4 v[2:5], v21, s[12:13]
	global_load_dwordx4 v[6:9], v21, s[12:13] offset:16
	global_load_dwordx4 v[10:13], v21, s[12:13] offset:32
	global_load_dwordx4 v[30:33], v21, s[12:13] offset:48
	global_load_dwordx2 v[22:23], v21, s[12:13] offset:64
	s_movk_i32 s14, 0xffa0
	v_lshrrev_b32_e32 v21, 1, v26
	v_mul_u32_u24_e32 v21, 20, v21
	v_mad_i32_i24 v1, v26, s14, v1
	v_mad_i32_i24 v24, v27, s14, v35
	;; [unrolled: 1-line block ×5, first 2 shown]
	v_or_b32_e32 v21, v21, v20
	ds_read_b64 v[28:29], v18
	ds_read_b64 v[42:43], v19
	v_add_u32_e32 v20, 0x2580, v1
	ds_read_b64 v[44:45], v1
	ds_read_b64 v[46:47], v24
	;; [unrolled: 1-line block ×3, first 2 shown]
	ds_read_b64 v[50:51], v1 offset:17280
	ds_read2_b64 v[34:37], v20 offset1:240
	v_mul_u32_u24_e32 v25, 0x60, v21
	v_add_u32_e32 v21, 0x3480, v1
	v_add3_u32 v25, 0, v25, v38
	ds_read2_b64 v[38:41], v21 offset1:240
	s_mov_b32 s18, 0x3e9e377a
	s_mov_b32 s19, 0x3f167918
	;; [unrolled: 1-line block ×9, first 2 shown]
	s_waitcnt lgkmcnt(0)
	s_barrier
	s_mov_b32 s16, s18
	v_cmp_gt_u64_e32 vcc, s[20:21], v[16:17]
	s_mov_b32 s14, 0xbf737871
	s_or_b64 s[2:3], s[2:3], vcc
	s_waitcnt vmcnt(4)
	v_pk_mul_f32 v[52:53], v[2:3], v[48:49] op_sel:[0,1]
	v_pk_mul_f32 v[54:55], v[4:5], v[46:47] op_sel:[0,1]
	s_waitcnt vmcnt(3)
	v_pk_mul_f32 v[56:57], v[6:7], v[28:29] op_sel:[0,1]
	v_pk_mul_f32 v[58:59], v[8:9], v[42:43] op_sel:[0,1]
	s_waitcnt vmcnt(2)
	v_pk_mul_f32 v[60:61], v[10:11], v[34:35] op_sel:[0,1]
	v_mov_b32_e32 v62, v13
	v_pk_fma_f32 v[66:67], v[2:3], v[48:49], v[52:53] op_sel:[0,0,1] op_sel_hi:[1,0,0]
	v_pk_fma_f32 v[2:3], v[2:3], v[48:49], v[52:53] op_sel:[0,0,1] op_sel_hi:[1,0,0] neg_lo:[1,0,0] neg_hi:[1,0,0]
	v_pk_fma_f32 v[48:49], v[4:5], v[46:47], v[54:55] op_sel:[0,0,1] op_sel_hi:[1,1,0]
	v_pk_fma_f32 v[4:5], v[4:5], v[46:47], v[54:55] op_sel:[0,0,1] op_sel_hi:[1,0,0] neg_lo:[1,0,0] neg_hi:[1,0,0]
	;; [unrolled: 2-line block ×5, first 2 shown]
	v_pk_mul_f32 v[34:35], v[36:37], v[62:63] op_sel_hi:[1,0]
	v_mov_b32_e32 v49, v5
	v_mov_b32_e32 v29, v9
	v_pk_fma_f32 v[4:5], v[36:37], v[12:13], v[34:35] op_sel:[0,0,1] op_sel_hi:[1,1,0]
	v_pk_fma_f32 v[8:9], v[36:37], v[12:13], v[34:35] op_sel:[0,0,1] op_sel_hi:[1,0,0] neg_lo:[0,0,1] neg_hi:[0,0,1]
	s_waitcnt vmcnt(1)
	v_mov_b32_e32 v2, v33
	v_mov_b32_e32 v5, v9
	v_pk_mul_f32 v[8:9], v[40:41], v[2:3] op_sel_hi:[1,0]
	v_pk_mul_f32 v[64:65], v[38:39], v[30:31] op_sel:[0,1]
	v_pk_fma_f32 v[12:13], v[40:41], v[32:33], v[8:9] op_sel:[0,0,1] op_sel_hi:[1,1,0]
	v_pk_fma_f32 v[8:9], v[40:41], v[32:33], v[8:9] op_sel:[0,0,1] op_sel_hi:[1,0,0] neg_lo:[0,0,1] neg_hi:[0,0,1]
	v_pk_fma_f32 v[52:53], v[38:39], v[30:31], v[64:65] op_sel:[0,0,1] op_sel_hi:[1,1,0]
	v_mov_b32_e32 v13, v9
	s_waitcnt vmcnt(0)
	v_pk_mul_f32 v[8:9], v[50:51], v[22:23] op_sel:[0,1]
	v_pk_fma_f32 v[30:31], v[38:39], v[30:31], v[64:65] op_sel:[0,0,1] op_sel_hi:[1,0,0] neg_lo:[0,0,1] neg_hi:[0,0,1]
	v_pk_fma_f32 v[32:33], v[50:51], v[22:23], v[8:9] op_sel:[0,0,1] op_sel_hi:[1,1,0]
	v_mov_b32_e32 v38, v46
	v_mov_b32_e32 v39, v32
	;; [unrolled: 1-line block ×4, first 2 shown]
	v_pk_fma_f32 v[8:9], v[50:51], v[22:23], v[8:9] op_sel:[0,0,1] op_sel_hi:[1,0,0] neg_lo:[0,0,1] neg_hi:[0,0,1]
	v_pk_add_f32 v[50:51], v[38:39], v[40:41] neg_lo:[0,1] neg_hi:[0,1]
	v_mov_b32_e32 v43, v11
	v_mov_b32_e32 v53, v31
	;; [unrolled: 1-line block ×5, first 2 shown]
	v_pk_add_f32 v[34:35], v[42:43], v[52:53]
	v_pk_add_f32 v[50:51], v[50:51], v[2:3]
	v_pk_add_f32 v[54:55], v[42:43], v[52:53] neg_lo:[0,1] neg_hi:[0,1]
	v_fma_f32 v6, -0.5, v34, v66
	v_pk_add_f32 v[36:37], v[46:47], v[32:33] neg_lo:[0,1] neg_hi:[0,1]
	v_mov_b32_e32 v51, v55
	v_fmamk_f32 v8, v37, 0xbf737871, v6
	v_pk_mul_f32 v[50:51], v[50:51], s[18:19]
	v_pk_add_f32 v[38:39], v[40:41], v[38:39] neg_lo:[0,1] neg_hi:[0,1]
	v_sub_f32_e32 v2, v8, v51
	v_mov_b32_e32 v8, v39
	v_pk_add_f32 v[38:39], v[38:39], v[8:9]
	v_pk_add_f32 v[40:41], v[46:47], v[32:33]
	v_mov_b32_e32 v8, v66
	v_fmac_f32_e32 v8, -0.5, v40
	v_mov_b32_e32 v39, v37
	v_mov_b32_e32 v67, v3
	v_fmamk_f32 v10, v55, 0x3f737871, v8
	v_pk_mul_f32 v[38:39], v[38:39], s[18:19]
	v_fmac_f32_e32 v8, 0xbf737871, v55
	v_pk_add_f32 v[46:47], v[66:67], v[46:47]
	v_sub_f32_e32 v10, v10, v39
	v_add_f32_e32 v8, v39, v8
	v_add_f32_e32 v10, v38, v10
	;; [unrolled: 1-line block ×3, first 2 shown]
	v_pk_add_f32 v[38:39], v[46:47], v[42:43]
	v_mov_b32_e32 v8, v7
	v_pk_add_f32 v[38:39], v[38:39], v[52:53]
	v_mov_b32_e32 v30, v11
	v_pk_add_f32 v[32:33], v[38:39], v[32:33]
	v_pk_add_f32 v[38:39], v[8:9], v[30:31] neg_lo:[0,1] neg_hi:[0,1]
	v_fma_f32 v27, -0.5, v35, v3
	v_mov_b32_e32 v40, v39
	v_pk_add_f32 v[38:39], v[38:39], v[40:41]
	v_pk_add_f32 v[8:9], v[30:31], v[8:9] neg_lo:[0,1] neg_hi:[0,1]
	v_mov_b32_e32 v39, v54
	v_fmac_f32_e32 v6, 0x3f737871, v37
	v_fmamk_f32 v35, v36, 0x3f737871, v27
	v_pk_mul_f32 v[38:39], v[38:39], s[18:19]
	v_mov_b32_e32 v30, v9
	v_add_f32_e32 v6, v51, v6
	v_add_f32_e32 v7, v39, v35
	v_fmac_f32_e32 v27, 0xbf737871, v36
	v_pk_add_f32 v[8:9], v[8:9], v[30:31]
	v_pk_add_f32 v[42:43], v[28:29], v[4:5]
	v_pk_add_f32 v[46:47], v[48:49], v[12:13] neg_lo:[0,1] neg_hi:[0,1]
	v_add_f32_e32 v2, v50, v2
	v_add_f32_e32 v6, v50, v6
	;; [unrolled: 1-line block ×3, first 2 shown]
	v_sub_f32_e32 v7, v27, v39
	v_fmac_f32_e32 v3, -0.5, v41
	v_mov_b32_e32 v9, v36
	v_pk_fma_f32 v[42:43], v[42:43], 0.5, v[44:45] op_sel_hi:[1,0,1] neg_lo:[1,0,0] neg_hi:[1,0,0]
	v_pk_mul_f32 v[50:51], v[46:47], s[22:23] op_sel_hi:[1,0]
	v_pk_add_f32 v[52:53], v[28:29], v[4:5] neg_lo:[0,1] neg_hi:[0,1]
	v_pk_add_f32 v[56:57], v[48:49], v[28:29] neg_lo:[0,1] neg_hi:[0,1]
	;; [unrolled: 1-line block ×3, first 2 shown]
	v_pk_add_f32 v[22:23], v[44:45], v[48:49]
	v_add_f32_e32 v38, v38, v7
	v_fmamk_f32 v7, v54, 0xbf737871, v3
	v_pk_mul_f32 v[8:9], v[8:9], s[18:19]
	v_fmac_f32_e32 v3, 0x3f737871, v54
	v_pk_mul_f32 v[54:55], v[52:53], s[24:25] op_sel_hi:[1,0]
	v_pk_add_f32 v[56:57], v[56:57], v[58:59]
	v_pk_add_f32 v[58:59], v[42:43], v[50:51] op_sel:[0,1] op_sel_hi:[1,0] neg_lo:[0,1] neg_hi:[0,1]
	v_pk_add_f32 v[42:43], v[42:43], v[50:51] op_sel:[0,1] op_sel_hi:[1,0]
	v_pk_add_f32 v[22:23], v[22:23], v[28:29]
	v_add_f32_e32 v7, v9, v7
	v_sub_f32_e32 v3, v3, v9
	v_pk_add_f32 v[42:43], v[42:43], v[54:55] op_sel:[0,1] op_sel_hi:[1,0]
	v_pk_add_f32 v[50:51], v[58:59], v[54:55] op_sel:[0,1] op_sel_hi:[1,0] neg_lo:[0,1] neg_hi:[0,1]
	v_pk_mul_f32 v[40:41], v[40:41], s[28:29] op_sel_hi:[0,1]
	v_pk_add_f32 v[22:23], v[22:23], v[4:5]
	v_add_f32_e32 v30, v8, v7
	v_add_f32_e32 v8, v8, v3
	v_mov_b32_e32 v54, v50
	v_mov_b32_e32 v55, v43
	v_pk_fma_f32 v[58:59], v[2:3], s[26:27], v[40:41] neg_lo:[0,0,1] neg_hi:[0,0,1]
	v_pk_fma_f32 v[2:3], v[2:3], s[26:27], v[40:41] op_sel_hi:[0,1,1]
	v_pk_add_f32 v[22:23], v[22:23], v[12:13]
	v_pk_fma_f32 v[54:55], v[56:57], s[18:19], v[54:55] op_sel_hi:[1,0,1]
	v_mov_b32_e32 v59, v3
	v_pk_add_f32 v[36:37], v[22:23], v[32:33]
	v_pk_add_f32 v[2:3], v[54:55], v[58:59]
	s_mov_b32 s26, s17
	s_mov_b32 s27, s18
	ds_write2_b64 v25, v[36:37], v[2:3] offset1:24
	v_pk_add_f32 v[2:3], v[48:49], v[12:13]
	v_pk_add_f32 v[28:29], v[28:29], v[48:49] neg_lo:[0,1] neg_hi:[0,1]
	v_pk_add_f32 v[4:5], v[4:5], v[12:13] neg_lo:[0,1] neg_hi:[0,1]
	v_pk_mul_f32 v[12:13], v[30:31], s[26:27] op_sel_hi:[0,1]
	v_pk_add_f32 v[4:5], v[28:29], v[4:5]
	v_pk_fma_f32 v[28:29], v[10:11], s[16:17], v[12:13] neg_lo:[0,0,1] neg_hi:[0,0,1]
	v_pk_fma_f32 v[10:11], v[10:11], s[16:17], v[12:13] op_sel_hi:[0,1,1]
	v_pk_fma_f32 v[2:3], v[2:3], 0.5, v[44:45] op_sel_hi:[1,0,1] neg_lo:[1,0,0] neg_hi:[1,0,0]
	v_mov_b32_e32 v29, v11
	v_pk_mul_f32 v[10:11], v[52:53], s[22:23] op_sel_hi:[1,0]
	v_pk_mul_f32 v[12:13], v[46:47], s[24:25] op_sel_hi:[1,0]
	v_pk_add_f32 v[30:31], v[2:3], v[10:11] op_sel:[0,1] op_sel_hi:[1,0]
	v_pk_add_f32 v[2:3], v[2:3], v[10:11] op_sel:[0,1] op_sel_hi:[1,0] neg_lo:[0,1] neg_hi:[0,1]
	v_pk_add_f32 v[10:11], v[30:31], v[12:13] op_sel:[0,1] op_sel_hi:[1,0] neg_lo:[0,1] neg_hi:[0,1]
	v_pk_add_f32 v[2:3], v[2:3], v[12:13] op_sel:[0,1] op_sel_hi:[1,0]
	v_mov_b32_e32 v12, v10
	v_mov_b32_e32 v13, v3
	s_mov_b32 s16, 0xbe9e377a
	v_pk_mul_f32 v[8:9], v[8:9], s[26:27] op_sel_hi:[0,1]
	v_mov_b32_e32 v3, v11
	v_pk_fma_f32 v[12:13], v[4:5], s[18:19], v[12:13] op_sel_hi:[1,0,1]
	v_pk_fma_f32 v[8:9], v[34:35], s[16:17], v[8:9] op_sel_hi:[0,1,1] neg_lo:[0,0,1] neg_hi:[0,0,1]
	v_pk_fma_f32 v[2:3], v[4:5], s[18:19], v[2:3] op_sel_hi:[1,0,1]
	v_pk_add_f32 v[30:31], v[12:13], v[28:29]
	v_pk_add_f32 v[4:5], v[2:3], v[8:9]
	ds_write2_b64 v25, v[30:31], v[4:5] offset0:48 offset1:72
	s_mov_b32 s22, 0xbf4f1bbd
	s_mov_b32 s23, s19
	v_pk_mul_f32 v[4:5], v[38:39], s[28:29] op_sel_hi:[0,1]
	v_mov_b32_e32 v43, v51
	v_pk_fma_f32 v[4:5], v[6:7], s[22:23], v[4:5] op_sel_hi:[0,1,1] neg_lo:[0,0,1] neg_hi:[0,0,1]
	v_pk_fma_f32 v[6:7], v[56:57], s[18:19], v[42:43] op_sel_hi:[1,0,1]
	v_pk_add_f32 v[22:23], v[22:23], v[32:33] neg_lo:[0,1] neg_hi:[0,1]
	v_pk_add_f32 v[10:11], v[6:7], v[4:5]
	ds_write2_b64 v25, v[10:11], v[22:23] offset0:96 offset1:120
	v_pk_add_f32 v[10:11], v[54:55], v[58:59] neg_lo:[0,1] neg_hi:[0,1]
	v_pk_add_f32 v[12:13], v[12:13], v[28:29] neg_lo:[0,1] neg_hi:[0,1]
	;; [unrolled: 1-line block ×4, first 2 shown]
	ds_write2_b64 v25, v[10:11], v[12:13] offset0:144 offset1:168
	ds_write2_b64 v25, v[2:3], v[4:5] offset0:192 offset1:216
	s_waitcnt lgkmcnt(0)
	s_barrier
	s_and_saveexec_b64 s[20:21], s[2:3]
	s_cbranch_execz .LBB0_16
; %bb.15:
	v_mul_lo_u16_e32 v2, 13, v26
	v_mov_b32_e32 v3, 20
	v_mul_lo_u16_sdwa v2, v2, v3 dst_sel:DWORD dst_unused:UNUSED_PAD src0_sel:BYTE_1 src1_sel:DWORD
	v_sub_u16_e32 v2, v26, v2
	v_and_b32_e32 v25, 0xff, v2
	v_mul_u32_u24_e32 v2, 9, v25
	v_lshlrev_b32_e32 v17, 3, v2
	global_load_dwordx4 v[2:5], v17, s[12:13] offset:192
	global_load_dwordx4 v[6:9], v17, s[12:13] offset:176
	s_load_dwordx2 s[0:1], s[0:1], 0x8
	v_add_u32_e32 v23, 0x8c, v25
	global_load_dwordx4 v[10:13], v17, s[12:13] offset:160
	v_add_u32_e32 v31, 0x78, v25
	v_mov_b32_e32 v22, 3
	v_add_u32_e32 v26, 0xb4, v25
	v_mul_lo_u32 v23, v16, v23
	v_mul_lo_u32 v31, v16, v31
	v_or_b32_e32 v30, 0xa0, v25
	v_add_u32_e32 v32, 0x64, v25
	v_mul_lo_u32 v42, v16, v26
	global_load_dwordx4 v[26:29], v17, s[12:13] offset:144
	v_lshlrev_b32_sdwa v43, v22, v23 dst_sel:DWORD dst_unused:UNUSED_PAD src0_sel:DWORD src1_sel:BYTE_0
	v_lshlrev_b32_sdwa v23, v22, v23 dst_sel:DWORD dst_unused:UNUSED_PAD src0_sel:DWORD src1_sel:BYTE_1
	v_lshlrev_b32_sdwa v44, v22, v31 dst_sel:DWORD dst_unused:UNUSED_PAD src0_sel:DWORD src1_sel:BYTE_0
	v_lshlrev_b32_sdwa v31, v22, v31 dst_sel:DWORD dst_unused:UNUSED_PAD src0_sel:DWORD src1_sel:BYTE_1
	v_add_u32_e32 v33, 0x50, v25
	s_waitcnt lgkmcnt(0)
	global_load_dwordx2 v[34:35], v43, s[0:1]
	global_load_dwordx2 v[36:37], v23, s[0:1] offset:2048
	global_load_dwordx2 v[38:39], v44, s[0:1]
	global_load_dwordx2 v[40:41], v31, s[0:1] offset:2048
	v_mul_lo_u32 v23, v16, v30
	v_mul_lo_u32 v30, v16, v32
	v_lshlrev_b32_sdwa v31, v22, v42 dst_sel:DWORD dst_unused:UNUSED_PAD src0_sel:DWORD src1_sel:BYTE_0
	v_lshlrev_b32_sdwa v32, v22, v42 dst_sel:DWORD dst_unused:UNUSED_PAD src0_sel:DWORD src1_sel:BYTE_1
	global_load_dwordx2 v[42:43], v31, s[0:1]
	global_load_dwordx2 v[44:45], v32, s[0:1] offset:2048
	v_mul_lo_u32 v31, v16, v33
	v_lshlrev_b32_sdwa v32, v22, v23 dst_sel:DWORD dst_unused:UNUSED_PAD src0_sel:DWORD src1_sel:BYTE_0
	v_lshlrev_b32_sdwa v23, v22, v23 dst_sel:DWORD dst_unused:UNUSED_PAD src0_sel:DWORD src1_sel:BYTE_1
	v_add_u32_e32 v58, 60, v25
	global_load_dwordx2 v[46:47], v23, s[0:1] offset:2048
	global_load_dwordx2 v[48:49], v32, s[0:1]
	v_lshlrev_b32_sdwa v23, v22, v31 dst_sel:DWORD dst_unused:UNUSED_PAD src0_sel:DWORD src1_sel:BYTE_0
	v_lshlrev_b32_sdwa v31, v22, v31 dst_sel:DWORD dst_unused:UNUSED_PAD src0_sel:DWORD src1_sel:BYTE_1
	v_add_u32_e32 v59, 40, v25
	v_lshlrev_b32_sdwa v33, v22, v30 dst_sel:DWORD dst_unused:UNUSED_PAD src0_sel:DWORD src1_sel:BYTE_0
	v_lshlrev_b32_sdwa v30, v22, v30 dst_sel:DWORD dst_unused:UNUSED_PAD src0_sel:DWORD src1_sel:BYTE_1
	global_load_dwordx2 v[50:51], v23, s[0:1]
	global_load_dwordx2 v[52:53], v31, s[0:1] offset:2048
	global_load_dwordx2 v[54:55], v30, s[0:1] offset:2048
	global_load_dwordx2 v[56:57], v33, s[0:1]
	v_add_u32_e32 v23, 20, v25
	v_mul_lo_u32 v31, v16, v58
	v_mul_lo_u32 v30, v16, v25
	;; [unrolled: 1-line block ×4, first 2 shown]
	v_lshlrev_b32_sdwa v23, v22, v31 dst_sel:DWORD dst_unused:UNUSED_PAD src0_sel:DWORD src1_sel:BYTE_0
	v_lshlrev_b32_sdwa v31, v22, v31 dst_sel:DWORD dst_unused:UNUSED_PAD src0_sel:DWORD src1_sel:BYTE_1
	global_load_dwordx2 v[58:59], v23, s[0:1]
	global_load_dwordx2 v[60:61], v31, s[0:1] offset:2048
	v_lshlrev_b32_sdwa v23, v22, v32 dst_sel:DWORD dst_unused:UNUSED_PAD src0_sel:DWORD src1_sel:BYTE_0
	v_lshlrev_b32_sdwa v31, v22, v32 dst_sel:DWORD dst_unused:UNUSED_PAD src0_sel:DWORD src1_sel:BYTE_1
	global_load_dwordx2 v[62:63], v23, s[0:1]
	global_load_dwordx2 v[64:65], v31, s[0:1] offset:2048
	;; [unrolled: 4-line block ×4, first 2 shown]
	global_load_dwordx2 v[74:75], v17, s[12:13] offset:208
	ds_read2_b64 v[30:33], v21 offset1:240
	ds_read2_b64 v[20:23], v20 offset1:240
	ds_read_b64 v[76:77], v19
	ds_read_b64 v[78:79], v18
	s_mov_b32 s0, 0xbf167918
	s_mov_b32 s1, s22
	;; [unrolled: 1-line block ×3, first 2 shown]
	s_lshl_b64 s[6:7], s[6:7], 3
	s_add_u32 s4, s4, s6
	s_addc_u32 s5, s5, s7
	s_mov_b32 s15, s16
	s_waitcnt vmcnt(24)
	v_mov_b32_e32 v16, v5
	s_waitcnt lgkmcnt(3)
	v_pk_mul_f32 v[18:19], v[30:31], v[2:3] op_sel:[0,1]
	s_waitcnt vmcnt(23)
	v_mov_b32_e32 v80, v9
	s_waitcnt lgkmcnt(2)
	v_pk_mul_f32 v[82:83], v[6:7], v[20:21] op_sel:[0,1]
	v_pk_mul_f32 v[84:85], v[32:33], v[16:17] op_sel_hi:[1,0]
	v_pk_fma_f32 v[86:87], v[30:31], v[2:3], v[18:19] op_sel:[0,0,1] op_sel_hi:[1,1,0]
	v_pk_fma_f32 v[16:17], v[30:31], v[2:3], v[18:19] op_sel:[0,0,1] op_sel_hi:[1,0,0] neg_lo:[0,0,1] neg_hi:[0,0,1]
	v_pk_mul_f32 v[2:3], v[22:23], v[80:81] op_sel_hi:[1,0]
	v_pk_fma_f32 v[30:31], v[6:7], v[20:21], v[82:83] op_sel:[0,0,1] op_sel_hi:[1,1,0]
	v_pk_fma_f32 v[80:81], v[6:7], v[20:21], v[82:83] op_sel:[0,0,1] op_sel_hi:[1,0,0] neg_lo:[1,0,0] neg_hi:[1,0,0]
	v_pk_fma_f32 v[20:21], v[22:23], v[8:9], v[2:3] op_sel:[0,0,1] op_sel_hi:[1,1,0]
	v_pk_fma_f32 v[82:83], v[22:23], v[8:9], v[2:3] op_sel:[0,0,1] op_sel_hi:[1,0,0] neg_lo:[0,0,1] neg_hi:[0,0,1]
	s_waitcnt vmcnt(22) lgkmcnt(1)
	v_pk_mul_f32 v[2:3], v[12:13], v[76:77] op_sel:[0,1]
	ds_read_b64 v[6:7], v24
	v_pk_fma_f32 v[22:23], v[12:13], v[76:77], v[2:3] op_sel:[0,0,1] op_sel_hi:[1,1,0]
	v_pk_fma_f32 v[76:77], v[12:13], v[76:77], v[2:3] op_sel:[0,0,1] op_sel_hi:[1,0,0] neg_lo:[1,0,0] neg_hi:[1,0,0]
	ds_read_b64 v[2:3], v15
	v_pk_fma_f32 v[18:19], v[32:33], v[4:5], v[84:85] op_sel:[0,0,1] op_sel_hi:[1,1,0]
	v_pk_fma_f32 v[32:33], v[32:33], v[4:5], v[84:85] op_sel:[0,0,1] op_sel_hi:[1,0,0] neg_lo:[0,0,1] neg_hi:[0,0,1]
	ds_read_b64 v[84:85], v1 offset:17280
	s_waitcnt lgkmcnt(3)
	v_pk_mul_f32 v[4:5], v[10:11], v[78:79] op_sel:[0,1]
	s_waitcnt vmcnt(21) lgkmcnt(1)
	v_pk_mul_f32 v[88:89], v[26:27], v[2:3] op_sel:[0,1]
	v_pk_fma_f32 v[8:9], v[10:11], v[78:79], v[4:5] op_sel:[0,0,1] op_sel_hi:[1,1,0]
	v_pk_fma_f32 v[78:79], v[10:11], v[78:79], v[4:5] op_sel:[0,0,1] op_sel_hi:[1,0,0] neg_lo:[1,0,0] neg_hi:[1,0,0]
	v_pk_mul_f32 v[4:5], v[28:29], v[6:7] op_sel:[0,1]
	v_pk_fma_f32 v[10:11], v[26:27], v[2:3], v[88:89] op_sel:[0,0,1] op_sel_hi:[1,0,0]
	v_pk_fma_f32 v[12:13], v[28:29], v[6:7], v[4:5] op_sel:[0,0,1] op_sel_hi:[1,1,0]
	v_pk_fma_f32 v[28:29], v[28:29], v[6:7], v[4:5] op_sel:[0,0,1] op_sel_hi:[1,0,0] neg_lo:[1,0,0] neg_hi:[1,0,0]
	v_pk_fma_f32 v[6:7], v[26:27], v[2:3], v[88:89] op_sel:[0,0,1] op_sel_hi:[1,0,0] neg_lo:[1,0,0] neg_hi:[1,0,0]
	s_waitcnt vmcnt(17)
	v_mul_f32_e32 v3, v39, v41
	v_mul_f32_e32 v82, v38, v41
	;; [unrolled: 1-line block ×4, first 2 shown]
	v_fma_f32 v89, v38, v40, -v3
	v_fmac_f32_e32 v82, v39, v40
	ds_read_b64 v[40:41], v1
	s_waitcnt vmcnt(10)
	v_mov_b32_e32 v6, v55
	s_waitcnt vmcnt(9)
	v_pk_mul_f32 v[38:39], v[56:57], v[54:55] op_sel:[1,0] op_sel_hi:[0,1]
	v_fma_f32 v88, v34, v36, -v2
	v_fmac_f32_e32 v80, v35, v36
	v_mov_b32_e32 v2, v45
	v_pk_mul_f32 v[4:5], v[42:43], v[44:45] op_sel:[1,0] op_sel_hi:[0,1]
	v_pk_mul_f32 v[36:37], v[56:57], v[6:7] op_sel:[1,0] op_sel_hi:[0,1]
	v_mov_b32_e32 v6, v39
	v_pk_mul_f32 v[2:3], v[42:43], v[2:3] op_sel:[1,0] op_sel_hi:[0,1]
	v_mov_b32_e32 v4, v5
	v_pk_fma_f32 v[38:39], v[56:57], v[54:55], v[6:7] op_sel:[1,0,0] op_sel_hi:[0,1,1]
	v_mul_f32_e32 v6, v51, v53
	v_pk_fma_f32 v[26:27], v[42:43], v[44:45], v[2:3] neg_lo:[0,0,1] neg_hi:[0,0,1]
	v_pk_fma_f32 v[34:35], v[42:43], v[44:45], v[4:5] op_sel:[1,0,0] op_sel_hi:[0,1,1]
	v_mov_b32_e32 v2, v47
	v_pk_mul_f32 v[4:5], v[48:49], v[46:47] op_sel:[1,0] op_sel_hi:[0,1]
	v_fma_f32 v15, v50, v52, -v6
	s_waitcnt vmcnt(7)
	v_mul_f32_e32 v6, v59, v61
	s_waitcnt vmcnt(0) lgkmcnt(1)
	v_pk_mul_f32 v[42:43], v[84:85], v[74:75] op_sel:[0,1]
	v_mov_b32_e32 v13, v29
	v_mov_b32_e32 v19, v33
	;; [unrolled: 1-line block ×4, first 2 shown]
	v_pk_mul_f32 v[2:3], v[48:49], v[2:3] op_sel:[1,0] op_sel_hi:[0,1]
	v_mov_b32_e32 v4, v5
	v_fma_f32 v90, v58, v60, -v6
	v_mul_f32_e32 v6, v63, v65
	v_pk_fma_f32 v[44:45], v[84:85], v[74:75], v[42:43] op_sel:[0,0,1] op_sel_hi:[1,1,0]
	v_pk_add_f32 v[28:29], v[12:13], v[22:23] neg_lo:[0,1] neg_hi:[0,1]
	v_pk_add_f32 v[32:33], v[18:19], v[20:21] neg_lo:[0,1] neg_hi:[0,1]
	v_pk_fma_f32 v[2:3], v[48:49], v[46:47], v[2:3] neg_lo:[0,0,1] neg_hi:[0,0,1]
	v_pk_fma_f32 v[4:5], v[48:49], v[46:47], v[4:5] op_sel:[1,0,0] op_sel_hi:[0,1,1]
	v_fma_f32 v92, v62, v64, -v6
	v_mul_f32_e32 v6, v67, v69
	v_pk_fma_f32 v[42:43], v[84:85], v[74:75], v[42:43] op_sel:[0,0,1] op_sel_hi:[1,0,0] neg_lo:[0,0,1] neg_hi:[0,0,1]
	v_pk_add_f32 v[28:29], v[28:29], v[32:33]
	v_mov_b32_e32 v32, v8
	v_mov_b32_e32 v33, v44
	;; [unrolled: 1-line block ×4, first 2 shown]
	v_mul_f32_e32 v24, v50, v53
	v_fma_f32 v94, v66, v68, -v6
	v_mul_f32_e32 v6, v71, v73
	v_pk_add_f32 v[48:49], v[32:33], v[46:47] neg_lo:[0,1] neg_hi:[0,1]
	v_mov_b32_e32 v42, v79
	v_mov_b32_e32 v16, v81
	v_fmac_f32_e32 v24, v51, v52
	v_fma_f32 v96, v70, v72, -v6
	v_mov_b32_e32 v6, v49
	v_mov_b32_e32 v31, v81
	v_pk_add_f32 v[50:51], v[42:43], v[16:17] neg_lo:[0,1] neg_hi:[0,1]
	v_mov_b32_e32 v87, v17
	v_pk_add_f32 v[48:49], v[48:49], v[6:7]
	v_mov_b32_e32 v6, v51
	v_pk_add_f32 v[52:53], v[30:31], v[86:87]
	;; [unrolled: 2-line block ×3, first 2 shown]
	v_fma_f32 v81, -0.5, v52, v10
	v_fma_f32 v83, -0.5, v53, v7
	v_mov_b32_e32 v45, v43
	v_pk_add_f32 v[52:53], v[30:31], v[86:87] neg_lo:[0,1] neg_hi:[0,1]
	v_pk_fma_f32 v[36:37], v[56:57], v[54:55], v[36:37] neg_lo:[0,0,1] neg_hi:[0,0,1]
	v_pk_add_f32 v[54:55], v[8:9], v[44:45] neg_lo:[0,1] neg_hi:[0,1]
	v_mov_b32_e32 v51, v52
	v_mul_f32_e32 v91, v58, v61
	v_pk_mul_f32 v[50:51], v[50:51], s[18:19]
	v_fmamk_f32 v6, v54, 0xbf737871, v83
	v_fmac_f32_e32 v91, v59, v60
	v_sub_f32_e32 v6, v6, v51
	v_pk_add_f32 v[58:59], v[22:23], v[20:21]
	v_mul_f32_e32 v93, v62, v65
	v_mov_b32_e32 v49, v53
	v_add_f32_e32 v6, v50, v6
	s_waitcnt lgkmcnt(0)
	v_pk_fma_f32 v[58:59], v[58:59], 0.5, v[40:41] op_sel_hi:[1,0,1] neg_lo:[1,0,0] neg_hi:[1,0,0]
	v_pk_add_f32 v[60:61], v[12:13], v[18:19] neg_lo:[0,1] neg_hi:[0,1]
	v_fmac_f32_e32 v93, v63, v64
	v_mul_f32_e32 v95, v66, v69
	v_pk_mul_f32 v[48:49], v[48:49], s[18:19]
	v_fmamk_f32 v1, v55, 0x3f737871, v81
	v_pk_mul_f32 v[56:57], v[6:7], s[0:1] op_sel_hi:[0,1]
	s_mov_b32 s0, s19
	v_pk_fma_f32 v[62:63], v[60:61], s[2:3], v[58:59] op_sel:[1,0,0] op_sel_hi:[0,0,1]
	v_pk_fma_f32 v[58:59], v[60:61], s[2:3], v[58:59] op_sel:[1,0,0] op_sel_hi:[0,0,1] neg_lo:[1,0,0] neg_hi:[1,0,0]
	v_pk_add_f32 v[64:65], v[22:23], v[20:21] neg_lo:[0,1] neg_hi:[0,1]
	v_fmac_f32_e32 v95, v67, v68
	v_add_f32_e32 v1, v49, v1
	v_pk_fma_f32 v[58:59], v[64:65], s[0:1], v[58:59] op_sel:[1,0,0] op_sel_hi:[0,0,1] neg_lo:[1,0,0] neg_hi:[1,0,0]
	v_pk_fma_f32 v[66:67], v[64:65], s[0:1], v[62:63] op_sel:[1,0,0] op_sel_hi:[0,0,1]
	v_add_f32_e32 v6, v48, v1
	v_mov_b32_e32 v67, v59
	v_pk_fma_f32 v[56:57], v[6:7], s[22:23], v[56:57] op_sel_hi:[0,1,1]
	v_pk_fma_f32 v[66:67], v[28:29], s[18:19], v[66:67] op_sel_hi:[1,0,1]
	v_mul_f32_e32 v97, v70, v73
	v_pk_add_f32 v[68:69], v[66:67], v[56:57] neg_lo:[0,1] neg_hi:[0,1]
	v_mov_b32_e32 v11, v7
	v_pk_mul_f32 v[34:35], v[68:69], v[34:35] op_sel_hi:[1,0]
	v_fmac_f32_e32 v97, v71, v72
	v_pk_fma_f32 v[70:71], v[68:69], v[26:27], v[34:35] op_sel:[0,0,1] op_sel_hi:[1,1,0]
	v_pk_fma_f32 v[26:27], v[68:69], v[26:27], v[34:35] op_sel:[0,0,1] op_sel_hi:[1,0,0] neg_lo:[0,0,1] neg_hi:[0,0,1]
	v_pk_add_f32 v[34:35], v[10:11], v[8:9]
	v_pk_mul_f32 v[28:29], v[28:29], s[18:19] op_sel_hi:[1,0]
	v_pk_add_f32 v[30:31], v[34:35], v[30:31]
	v_pk_add_f32 v[34:35], v[40:41], v[12:13]
	;; [unrolled: 1-line block ×6, first 2 shown]
	v_fmac_f32_e32 v63, 0x3f167918, v64
	v_pk_add_f32 v[34:35], v[34:35], v[18:19]
	v_add_f32_e32 v11, v29, v63
	v_pk_add_f32 v[68:69], v[34:35], v[30:31] neg_lo:[0,1] neg_hi:[0,1]
	v_add_f32_e32 v26, v28, v58
	v_pk_mul_f32 v[38:39], v[68:69], v[38:39] op_sel_hi:[1,0]
	v_pk_add_f32 v[28:29], v[66:67], v[56:57]
	s_movk_i32 s1, 0x112
	v_pk_fma_f32 v[72:73], v[68:69], v[36:37], v[38:39] op_sel:[0,0,1] op_sel_hi:[1,1,0]
	v_pk_fma_f32 v[36:37], v[68:69], v[36:37], v[38:39] op_sel:[0,0,1] op_sel_hi:[1,0,0] neg_lo:[0,0,1] neg_hi:[0,0,1]
	v_mul_f32_e32 v1, v28, v24
	v_mul_f32_e32 v38, v29, v24
	v_mul_u32_u24_sdwa v0, v0, s1 dst_sel:DWORD dst_unused:UNUSED_PAD src0_sel:WORD_0 src1_sel:DWORD
	s_movk_i32 s1, 0xc8
	v_fma_f32 v39, v29, v15, -v1
	v_fmac_f32_e32 v38, v28, v15
	v_mad_u64_u32 v[28:29], s[12:13], s10, v14, 0
	v_mul_lo_u16_sdwa v0, v0, s1 dst_sel:DWORD dst_unused:UNUSED_PAD src0_sel:WORD_1 src1_sel:DWORD
	v_mov_b32_e32 v6, v29
	v_add_u32_e32 v36, v25, v0
	v_mad_u64_u32 v[14:15], s[10:11], s11, v14, v[6:7]
	v_mad_u64_u32 v[0:1], s[10:11], s8, v36, 0
	v_mov_b32_e32 v6, v1
	v_mov_b32_e32 v29, v14
	v_mad_u64_u32 v[14:15], s[10:11], s9, v36, v[6:7]
	v_add_u32_e32 v24, 20, v36
	v_mov_b32_e32 v1, v14
	v_mad_u64_u32 v[14:15], s[10:11], s8, v24, 0
	v_mov_b32_e32 v6, v15
	v_mad_u64_u32 v[24:25], s[10:11], s9, v24, v[6:7]
	v_add_u32_e32 v56, 40, v36
	v_mov_b32_e32 v15, v24
	v_mad_u64_u32 v[24:25], s[10:11], s8, v56, 0
	;; [unrolled: 5-line block ×8, first 2 shown]
	v_mov_b32_e32 v6, v75
	v_pk_add_f32 v[22:23], v[22:23], v[12:13] neg_lo:[0,1] neg_hi:[0,1]
	v_pk_add_f32 v[12:13], v[12:13], v[18:19]
	v_mad_u64_u32 v[76:77], s[10:11], s9, v71, v[6:7]
	v_add_u32_e32 v36, 0xb4, v36
	v_pk_add_f32 v[20:21], v[20:21], v[18:19] neg_lo:[0,1] neg_hi:[0,1]
	v_pk_fma_f32 v[12:13], v[12:13], 0.5, v[40:41] op_sel_hi:[1,0,1] neg_lo:[1,0,0] neg_hi:[1,0,0]
	v_mov_b32_e32 v75, v76
	v_mad_u64_u32 v[76:77], s[10:11], s8, v36, 0
	v_pk_add_f32 v[20:21], v[22:23], v[20:21]
	v_pk_fma_f32 v[18:19], v[64:65], s[2:3], v[12:13] op_sel:[1,0,0] op_sel_hi:[0,0,1] neg_lo:[1,0,0] neg_hi:[1,0,0]
	v_mov_b32_e32 v6, v77
	v_pk_fma_f32 v[22:23], v[60:61], s[0:1], v[18:19] op_sel:[1,0,0] op_sel_hi:[0,0,1]
	v_fmac_f32_e32 v19, 0x3f167918, v60
	v_pk_mul_f32 v[40:41], v[20:21], s[18:19] op_sel_hi:[1,0]
	v_mad_u64_u32 v[78:79], s[8:9], s9, v36, v[6:7]
	v_add_f32_e32 v36, v41, v19
	v_pk_add_f32 v[18:19], v[46:47], v[32:33] neg_lo:[0,1] neg_hi:[0,1]
	v_pk_add_f32 v[16:17], v[16:17], v[42:43] neg_lo:[0,1] neg_hi:[0,1]
	v_mov_b32_e32 v6, v19
	v_pk_fma_f32 v[12:13], v[64:65], s[2:3], v[12:13] op_sel:[1,0,0] op_sel_hi:[0,0,1]
	v_pk_add_f32 v[18:19], v[18:19], v[6:7]
	v_pk_add_f32 v[8:9], v[8:9], v[44:45]
	v_mov_b32_e32 v6, v17
	v_fmac_f32_e32 v83, 0x3f737871, v54
	v_pk_fma_f32 v[12:13], v[60:61], s[0:1], v[12:13] op_sel:[1,0,0] op_sel_hi:[0,0,1] neg_lo:[1,0,0] neg_hi:[1,0,0]
	v_pk_add_f32 v[16:17], v[16:17], v[6:7]
	v_mov_b32_e32 v6, v10
	v_fmac_f32_e32 v7, -0.5, v9
	v_fmac_f32_e32 v81, 0xbf737871, v55
	v_add_f32_e32 v9, v51, v83
	v_mov_b32_e32 v23, v13
	v_fmac_f32_e32 v6, -0.5, v8
	v_sub_f32_e32 v8, v81, v49
	v_add_f32_e32 v9, v50, v9
	v_add_f32_e32 v40, v40, v12
	v_pk_fma_f32 v[12:13], v[20:21], s[18:19], v[22:23] op_sel_hi:[1,0,1]
	v_add_f32_e32 v8, v48, v8
	v_mul_f32_e32 v22, 0xbf167918, v9
	v_mov_b32_e32 v17, v54
	v_mul_f32_e32 v10, 0x3f4f1bbd, v9
	v_fmac_f32_e32 v22, 0x3f4f1bbd, v8
	v_fmamk_f32 v21, v52, 0x3f737871, v7
	v_fmac_f32_e32 v7, 0xbf737871, v52
	v_mov_b32_e32 v19, v55
	v_fmac_f32_e32 v10, 0x3f167918, v8
	v_sub_f32_e32 v23, v26, v22
	v_add_f32_e32 v22, v26, v22
	v_pk_mul_f32 v[16:17], v[16:17], s[18:19]
	v_fmamk_f32 v20, v53, 0xbf737871, v6
	v_fmac_f32_e32 v6, 0x3f737871, v53
	v_sub_f32_e32 v8, v11, v10
	v_add_f32_e32 v10, v11, v10
	v_mul_f32_e32 v11, v22, v95
	v_pk_mul_f32 v[18:19], v[18:19], s[18:19]
	v_add_f32_e32 v7, v17, v7
	v_fma_f32 v11, v10, v94, -v11
	v_mul_f32_e32 v10, v10, v95
	v_sub_f32_e32 v6, v6, v19
	v_sub_f32_e32 v17, v21, v17
	v_add_f32_e32 v7, v16, v7
	v_fmac_f32_e32 v10, v22, v94
	v_add_f32_e32 v20, v19, v20
	v_add_f32_e32 v19, v18, v6
	;; [unrolled: 1-line block ×3, first 2 shown]
	v_mul_f32_e32 v17, 0x3e9e377a, v7
	v_mul_f32_e32 v22, 0xbf737871, v7
	v_add_f32_e32 v6, v18, v20
	v_fmac_f32_e32 v17, 0x3f737871, v19
	v_fmac_f32_e32 v22, 0x3e9e377a, v19
	v_pk_add_f32 v[18:19], v[34:35], v[30:31]
	v_lshl_add_u64 v[28:29], v[28:29], 3, s[4:5]
	v_mul_f32_e32 v7, v18, v97
	v_mul_f32_e32 v20, v19, v97
	v_lshl_add_u64 v[0:1], v[0:1], 3, v[28:29]
	v_fma_f32 v21, v19, v96, -v7
	v_fmac_f32_e32 v20, v18, v96
	v_lshl_add_u64 v[14:15], v[14:15], 3, v[28:29]
	global_store_dwordx2 v[0:1], v[20:21], off
	global_store_dwordx2 v[14:15], v[10:11], off
	v_pk_mul_f32 v[0:1], v[16:17], s[14:15] op_sel_hi:[0,1]
	v_pk_fma_f32 v[0:1], v[6:7], s[16:17], v[0:1] op_sel_hi:[0,1,1]
	v_pk_add_f32 v[6:7], v[12:13], v[0:1] neg_lo:[0,1] neg_hi:[0,1]
	v_pk_add_f32 v[0:1], v[12:13], v[0:1]
	v_pk_mul_f32 v[4:5], v[6:7], v[4:5] op_sel_hi:[1,0]
	v_mov_b32_e32 v77, v78
	v_pk_fma_f32 v[10:11], v[6:7], v[2:3], v[4:5] op_sel:[0,0,1] op_sel_hi:[1,1,0]
	v_pk_fma_f32 v[2:3], v[6:7], v[2:3], v[4:5] op_sel:[0,0,1] op_sel_hi:[1,0,0] neg_lo:[0,0,1] neg_hi:[0,0,1]
	v_sub_f32_e32 v6, v40, v22
	v_sub_f32_e32 v2, v36, v17
	v_mul_f32_e32 v4, v6, v80
	v_fma_f32 v5, v2, v88, -v4
	v_mul_f32_e32 v4, v2, v80
	v_mul_f32_e32 v2, v0, v91
	v_fmac_f32_e32 v4, v6, v88
	v_fma_f32 v7, v1, v90, -v2
	v_mul_f32_e32 v6, v1, v91
	v_add_f32_e32 v2, v40, v22
	v_fmac_f32_e32 v6, v0, v90
	v_add_f32_e32 v0, v36, v17
	v_mul_f32_e32 v1, v2, v93
	v_mul_f32_e32 v9, v23, v82
	v_fma_f32 v1, v0, v92, -v1
	v_mul_f32_e32 v0, v0, v93
	v_lshl_add_u64 v[24:25], v[24:25], 3, v[28:29]
	v_lshl_add_u64 v[56:57], v[56:57], 3, v[28:29]
	;; [unrolled: 1-line block ×8, first 2 shown]
	v_fma_f32 v9, v8, v89, -v9
	v_mul_f32_e32 v8, v8, v82
	v_fmac_f32_e32 v0, v2, v92
	v_mov_b32_e32 v73, v37
	v_mov_b32_e32 v11, v3
	;; [unrolled: 1-line block ×3, first 2 shown]
	v_fmac_f32_e32 v8, v23, v89
	global_store_dwordx2 v[24:25], v[0:1], off
	global_store_dwordx2 v[56:57], v[6:7], off
	global_store_dwordx2 v[58:59], v[38:39], off
	global_store_dwordx2 v[62:63], v[72:73], off
	global_store_dwordx2 v[66:67], v[8:9], off
	global_store_dwordx2 v[68:69], v[4:5], off
	global_store_dwordx2 v[74:75], v[10:11], off
	global_store_dwordx2 v[28:29], v[70:71], off
.LBB0_16:
	s_endpgm
	.section	.rodata,"a",@progbits
	.p2align	6, 0x0
	.amdhsa_kernel fft_rtc_back_len200_factors_2_10_10_wgs_240_tpt_20_dim3_sp_ip_CI_sbcc_twdbase8_2step_dirReg
		.amdhsa_group_segment_fixed_size 0
		.amdhsa_private_segment_fixed_size 0
		.amdhsa_kernarg_size 88
		.amdhsa_user_sgpr_count 2
		.amdhsa_user_sgpr_dispatch_ptr 0
		.amdhsa_user_sgpr_queue_ptr 0
		.amdhsa_user_sgpr_kernarg_segment_ptr 1
		.amdhsa_user_sgpr_dispatch_id 0
		.amdhsa_user_sgpr_kernarg_preload_length 0
		.amdhsa_user_sgpr_kernarg_preload_offset 0
		.amdhsa_user_sgpr_private_segment_size 0
		.amdhsa_uses_dynamic_stack 0
		.amdhsa_enable_private_segment 0
		.amdhsa_system_sgpr_workgroup_id_x 1
		.amdhsa_system_sgpr_workgroup_id_y 0
		.amdhsa_system_sgpr_workgroup_id_z 0
		.amdhsa_system_sgpr_workgroup_info 0
		.amdhsa_system_vgpr_workitem_id 0
		.amdhsa_next_free_vgpr 98
		.amdhsa_next_free_sgpr 30
		.amdhsa_accum_offset 100
		.amdhsa_reserve_vcc 1
		.amdhsa_float_round_mode_32 0
		.amdhsa_float_round_mode_16_64 0
		.amdhsa_float_denorm_mode_32 3
		.amdhsa_float_denorm_mode_16_64 3
		.amdhsa_dx10_clamp 1
		.amdhsa_ieee_mode 1
		.amdhsa_fp16_overflow 0
		.amdhsa_tg_split 0
		.amdhsa_exception_fp_ieee_invalid_op 0
		.amdhsa_exception_fp_denorm_src 0
		.amdhsa_exception_fp_ieee_div_zero 0
		.amdhsa_exception_fp_ieee_overflow 0
		.amdhsa_exception_fp_ieee_underflow 0
		.amdhsa_exception_fp_ieee_inexact 0
		.amdhsa_exception_int_div_zero 0
	.end_amdhsa_kernel
	.text
.Lfunc_end0:
	.size	fft_rtc_back_len200_factors_2_10_10_wgs_240_tpt_20_dim3_sp_ip_CI_sbcc_twdbase8_2step_dirReg, .Lfunc_end0-fft_rtc_back_len200_factors_2_10_10_wgs_240_tpt_20_dim3_sp_ip_CI_sbcc_twdbase8_2step_dirReg
                                        ; -- End function
	.section	.AMDGPU.csdata,"",@progbits
; Kernel info:
; codeLenInByte = 6492
; NumSgprs: 36
; NumVgprs: 98
; NumAgprs: 0
; TotalNumVgprs: 98
; ScratchSize: 0
; MemoryBound: 0
; FloatMode: 240
; IeeeMode: 1
; LDSByteSize: 0 bytes/workgroup (compile time only)
; SGPRBlocks: 4
; VGPRBlocks: 12
; NumSGPRsForWavesPerEU: 36
; NumVGPRsForWavesPerEU: 98
; AccumOffset: 100
; Occupancy: 4
; WaveLimiterHint : 1
; COMPUTE_PGM_RSRC2:SCRATCH_EN: 0
; COMPUTE_PGM_RSRC2:USER_SGPR: 2
; COMPUTE_PGM_RSRC2:TRAP_HANDLER: 0
; COMPUTE_PGM_RSRC2:TGID_X_EN: 1
; COMPUTE_PGM_RSRC2:TGID_Y_EN: 0
; COMPUTE_PGM_RSRC2:TGID_Z_EN: 0
; COMPUTE_PGM_RSRC2:TIDIG_COMP_CNT: 0
; COMPUTE_PGM_RSRC3_GFX90A:ACCUM_OFFSET: 24
; COMPUTE_PGM_RSRC3_GFX90A:TG_SPLIT: 0
	.text
	.p2alignl 6, 3212836864
	.fill 256, 4, 3212836864
	.type	__hip_cuid_2f32e1cdb0c74c92,@object ; @__hip_cuid_2f32e1cdb0c74c92
	.section	.bss,"aw",@nobits
	.globl	__hip_cuid_2f32e1cdb0c74c92
__hip_cuid_2f32e1cdb0c74c92:
	.byte	0                               ; 0x0
	.size	__hip_cuid_2f32e1cdb0c74c92, 1

	.ident	"AMD clang version 19.0.0git (https://github.com/RadeonOpenCompute/llvm-project roc-6.4.0 25133 c7fe45cf4b819c5991fe208aaa96edf142730f1d)"
	.section	".note.GNU-stack","",@progbits
	.addrsig
	.addrsig_sym __hip_cuid_2f32e1cdb0c74c92
	.amdgpu_metadata
---
amdhsa.kernels:
  - .agpr_count:     0
    .args:
      - .actual_access:  read_only
        .address_space:  global
        .offset:         0
        .size:           8
        .value_kind:     global_buffer
      - .address_space:  global
        .offset:         8
        .size:           8
        .value_kind:     global_buffer
      - .actual_access:  read_only
        .address_space:  global
        .offset:         16
        .size:           8
        .value_kind:     global_buffer
      - .actual_access:  read_only
        .address_space:  global
        .offset:         24
        .size:           8
        .value_kind:     global_buffer
      - .offset:         32
        .size:           8
        .value_kind:     by_value
      - .actual_access:  read_only
        .address_space:  global
        .offset:         40
        .size:           8
        .value_kind:     global_buffer
      - .actual_access:  read_only
        .address_space:  global
        .offset:         48
        .size:           8
        .value_kind:     global_buffer
      - .offset:         56
        .size:           4
        .value_kind:     by_value
      - .actual_access:  read_only
        .address_space:  global
        .offset:         64
        .size:           8
        .value_kind:     global_buffer
      - .actual_access:  read_only
        .address_space:  global
        .offset:         72
        .size:           8
        .value_kind:     global_buffer
      - .address_space:  global
        .offset:         80
        .size:           8
        .value_kind:     global_buffer
    .group_segment_fixed_size: 0
    .kernarg_segment_align: 8
    .kernarg_segment_size: 88
    .language:       OpenCL C
    .language_version:
      - 2
      - 0
    .max_flat_workgroup_size: 240
    .name:           fft_rtc_back_len200_factors_2_10_10_wgs_240_tpt_20_dim3_sp_ip_CI_sbcc_twdbase8_2step_dirReg
    .private_segment_fixed_size: 0
    .sgpr_count:     36
    .sgpr_spill_count: 0
    .symbol:         fft_rtc_back_len200_factors_2_10_10_wgs_240_tpt_20_dim3_sp_ip_CI_sbcc_twdbase8_2step_dirReg.kd
    .uniform_work_group_size: 1
    .uses_dynamic_stack: false
    .vgpr_count:     98
    .vgpr_spill_count: 0
    .wavefront_size: 64
amdhsa.target:   amdgcn-amd-amdhsa--gfx950
amdhsa.version:
  - 1
  - 2
...

	.end_amdgpu_metadata
